;; amdgpu-corpus repo=ROCm/rocFFT kind=compiled arch=gfx950 opt=O3
	.text
	.amdgcn_target "amdgcn-amd-amdhsa--gfx950"
	.amdhsa_code_object_version 6
	.protected	fft_rtc_fwd_len1350_factors_5_10_3_3_3_wgs_135_tpt_135_halfLds_sp_ip_CI_unitstride_sbrr_C2R_dirReg ; -- Begin function fft_rtc_fwd_len1350_factors_5_10_3_3_3_wgs_135_tpt_135_halfLds_sp_ip_CI_unitstride_sbrr_C2R_dirReg
	.globl	fft_rtc_fwd_len1350_factors_5_10_3_3_3_wgs_135_tpt_135_halfLds_sp_ip_CI_unitstride_sbrr_C2R_dirReg
	.p2align	8
	.type	fft_rtc_fwd_len1350_factors_5_10_3_3_3_wgs_135_tpt_135_halfLds_sp_ip_CI_unitstride_sbrr_C2R_dirReg,@function
fft_rtc_fwd_len1350_factors_5_10_3_3_3_wgs_135_tpt_135_halfLds_sp_ip_CI_unitstride_sbrr_C2R_dirReg: ; @fft_rtc_fwd_len1350_factors_5_10_3_3_3_wgs_135_tpt_135_halfLds_sp_ip_CI_unitstride_sbrr_C2R_dirReg
; %bb.0:
	s_load_dwordx2 s[8:9], s[0:1], 0x50
	s_load_dwordx4 s[4:7], s[0:1], 0x0
	s_load_dwordx2 s[10:11], s[0:1], 0x18
	v_mul_u32_u24_e32 v1, 0x1e6, v0
	v_add_u32_sdwa v6, s2, v1 dst_sel:DWORD dst_unused:UNUSED_PAD src0_sel:DWORD src1_sel:WORD_1
	v_mov_b32_e32 v4, 0
	s_waitcnt lgkmcnt(0)
	v_cmp_lt_u64_e64 s[2:3], s[6:7], 2
	v_mov_b32_e32 v7, v4
	s_and_b64 vcc, exec, s[2:3]
	v_mov_b64_e32 v[2:3], 0
	s_cbranch_vccnz .LBB0_8
; %bb.1:
	s_load_dwordx2 s[2:3], s[0:1], 0x10
	s_add_u32 s12, s10, 8
	s_addc_u32 s13, s11, 0
	s_mov_b64 s[14:15], 1
	v_mov_b64_e32 v[2:3], 0
	s_waitcnt lgkmcnt(0)
	s_add_u32 s16, s2, 8
	s_addc_u32 s17, s3, 0
.LBB0_2:                                ; =>This Inner Loop Header: Depth=1
	s_load_dwordx2 s[18:19], s[16:17], 0x0
                                        ; implicit-def: $vgpr8_vgpr9
	s_waitcnt lgkmcnt(0)
	v_or_b32_e32 v5, s19, v7
	v_cmp_ne_u64_e32 vcc, 0, v[4:5]
	s_and_saveexec_b64 s[2:3], vcc
	s_xor_b64 s[20:21], exec, s[2:3]
	s_cbranch_execz .LBB0_4
; %bb.3:                                ;   in Loop: Header=BB0_2 Depth=1
	v_cvt_f32_u32_e32 v1, s18
	v_cvt_f32_u32_e32 v5, s19
	s_sub_u32 s2, 0, s18
	s_subb_u32 s3, 0, s19
	v_fmac_f32_e32 v1, 0x4f800000, v5
	v_rcp_f32_e32 v1, v1
	s_nop 0
	v_mul_f32_e32 v1, 0x5f7ffffc, v1
	v_mul_f32_e32 v5, 0x2f800000, v1
	v_trunc_f32_e32 v5, v5
	v_fmac_f32_e32 v1, 0xcf800000, v5
	v_cvt_u32_f32_e32 v5, v5
	v_cvt_u32_f32_e32 v1, v1
	v_mul_lo_u32 v8, s2, v5
	v_mul_hi_u32 v10, s2, v1
	v_mul_lo_u32 v9, s3, v1
	v_add_u32_e32 v10, v10, v8
	v_mul_lo_u32 v12, s2, v1
	v_add_u32_e32 v13, v10, v9
	v_mul_hi_u32 v8, v1, v12
	v_mul_hi_u32 v11, v1, v13
	v_mul_lo_u32 v10, v1, v13
	v_mov_b32_e32 v9, v4
	v_lshl_add_u64 v[8:9], v[8:9], 0, v[10:11]
	v_mul_hi_u32 v11, v5, v12
	v_mul_lo_u32 v12, v5, v12
	v_add_co_u32_e32 v8, vcc, v8, v12
	v_mul_hi_u32 v10, v5, v13
	s_nop 0
	v_addc_co_u32_e32 v8, vcc, v9, v11, vcc
	v_mov_b32_e32 v9, v4
	s_nop 0
	v_addc_co_u32_e32 v11, vcc, 0, v10, vcc
	v_mul_lo_u32 v10, v5, v13
	v_lshl_add_u64 v[8:9], v[8:9], 0, v[10:11]
	v_add_co_u32_e32 v1, vcc, v1, v8
	v_mul_lo_u32 v10, s2, v1
	s_nop 0
	v_addc_co_u32_e32 v5, vcc, v5, v9, vcc
	v_mul_lo_u32 v8, s2, v5
	v_mul_hi_u32 v9, s2, v1
	v_add_u32_e32 v8, v9, v8
	v_mul_lo_u32 v9, s3, v1
	v_add_u32_e32 v12, v8, v9
	v_mul_hi_u32 v14, v5, v10
	v_mul_lo_u32 v15, v5, v10
	v_mul_hi_u32 v9, v1, v12
	v_mul_lo_u32 v8, v1, v12
	v_mul_hi_u32 v10, v1, v10
	v_mov_b32_e32 v11, v4
	v_lshl_add_u64 v[8:9], v[10:11], 0, v[8:9]
	v_add_co_u32_e32 v8, vcc, v8, v15
	v_mul_hi_u32 v13, v5, v12
	s_nop 0
	v_addc_co_u32_e32 v8, vcc, v9, v14, vcc
	v_mul_lo_u32 v10, v5, v12
	s_nop 0
	v_addc_co_u32_e32 v11, vcc, 0, v13, vcc
	v_mov_b32_e32 v9, v4
	v_lshl_add_u64 v[8:9], v[8:9], 0, v[10:11]
	v_add_co_u32_e32 v1, vcc, v1, v8
	v_mul_hi_u32 v10, v6, v1
	s_nop 0
	v_addc_co_u32_e32 v5, vcc, v5, v9, vcc
	v_mad_u64_u32 v[8:9], s[2:3], v6, v5, 0
	v_mov_b32_e32 v11, v4
	v_lshl_add_u64 v[8:9], v[10:11], 0, v[8:9]
	v_mad_u64_u32 v[12:13], s[2:3], v7, v1, 0
	v_add_co_u32_e32 v1, vcc, v8, v12
	v_mad_u64_u32 v[10:11], s[2:3], v7, v5, 0
	s_nop 0
	v_addc_co_u32_e32 v8, vcc, v9, v13, vcc
	v_mov_b32_e32 v9, v4
	s_nop 0
	v_addc_co_u32_e32 v11, vcc, 0, v11, vcc
	v_lshl_add_u64 v[8:9], v[8:9], 0, v[10:11]
	v_mul_lo_u32 v1, s19, v8
	v_mul_lo_u32 v5, s18, v9
	v_mad_u64_u32 v[10:11], s[2:3], s18, v8, 0
	v_add3_u32 v1, v11, v5, v1
	v_sub_u32_e32 v5, v7, v1
	v_mov_b32_e32 v11, s19
	v_sub_co_u32_e32 v14, vcc, v6, v10
	v_lshl_add_u64 v[12:13], v[8:9], 0, 1
	s_nop 0
	v_subb_co_u32_e64 v5, s[2:3], v5, v11, vcc
	v_subrev_co_u32_e64 v10, s[2:3], s18, v14
	v_subb_co_u32_e32 v1, vcc, v7, v1, vcc
	s_nop 0
	v_subbrev_co_u32_e64 v5, s[2:3], 0, v5, s[2:3]
	v_cmp_le_u32_e64 s[2:3], s19, v5
	v_cmp_le_u32_e32 vcc, s19, v1
	s_nop 0
	v_cndmask_b32_e64 v11, 0, -1, s[2:3]
	v_cmp_le_u32_e64 s[2:3], s18, v10
	s_nop 1
	v_cndmask_b32_e64 v10, 0, -1, s[2:3]
	v_cmp_eq_u32_e64 s[2:3], s19, v5
	s_nop 1
	v_cndmask_b32_e64 v5, v11, v10, s[2:3]
	v_lshl_add_u64 v[10:11], v[8:9], 0, 2
	v_cmp_ne_u32_e64 s[2:3], 0, v5
	s_nop 1
	v_cndmask_b32_e64 v5, v13, v11, s[2:3]
	v_cndmask_b32_e64 v11, 0, -1, vcc
	v_cmp_le_u32_e32 vcc, s18, v14
	s_nop 1
	v_cndmask_b32_e64 v13, 0, -1, vcc
	v_cmp_eq_u32_e32 vcc, s19, v1
	s_nop 1
	v_cndmask_b32_e32 v1, v11, v13, vcc
	v_cmp_ne_u32_e32 vcc, 0, v1
	v_cndmask_b32_e64 v1, v12, v10, s[2:3]
	s_nop 0
	v_cndmask_b32_e32 v9, v9, v5, vcc
	v_cndmask_b32_e32 v8, v8, v1, vcc
.LBB0_4:                                ;   in Loop: Header=BB0_2 Depth=1
	s_andn2_saveexec_b64 s[2:3], s[20:21]
	s_cbranch_execz .LBB0_6
; %bb.5:                                ;   in Loop: Header=BB0_2 Depth=1
	v_cvt_f32_u32_e32 v1, s18
	s_sub_i32 s20, 0, s18
	v_rcp_iflag_f32_e32 v1, v1
	s_nop 0
	v_mul_f32_e32 v1, 0x4f7ffffe, v1
	v_cvt_u32_f32_e32 v1, v1
	v_mul_lo_u32 v5, s20, v1
	v_mul_hi_u32 v5, v1, v5
	v_add_u32_e32 v1, v1, v5
	v_mul_hi_u32 v1, v6, v1
	v_mul_lo_u32 v5, v1, s18
	v_sub_u32_e32 v5, v6, v5
	v_add_u32_e32 v8, 1, v1
	v_subrev_u32_e32 v9, s18, v5
	v_cmp_le_u32_e32 vcc, s18, v5
	s_nop 1
	v_cndmask_b32_e32 v5, v5, v9, vcc
	v_cndmask_b32_e32 v1, v1, v8, vcc
	v_add_u32_e32 v8, 1, v1
	v_cmp_le_u32_e32 vcc, s18, v5
	v_mov_b32_e32 v9, v4
	s_nop 0
	v_cndmask_b32_e32 v8, v1, v8, vcc
.LBB0_6:                                ;   in Loop: Header=BB0_2 Depth=1
	s_or_b64 exec, exec, s[2:3]
	v_mad_u64_u32 v[10:11], s[2:3], v8, s18, 0
	s_load_dwordx2 s[2:3], s[12:13], 0x0
	v_mul_lo_u32 v1, v9, s18
	v_mul_lo_u32 v5, v8, s19
	v_add3_u32 v1, v11, v5, v1
	v_sub_co_u32_e32 v5, vcc, v6, v10
	s_add_u32 s14, s14, 1
	s_nop 0
	v_subb_co_u32_e32 v1, vcc, v7, v1, vcc
	s_addc_u32 s15, s15, 0
	s_waitcnt lgkmcnt(0)
	v_mul_lo_u32 v1, s2, v1
	v_mul_lo_u32 v6, s3, v5
	v_mad_u64_u32 v[2:3], s[2:3], s2, v5, v[2:3]
	s_add_u32 s12, s12, 8
	v_add3_u32 v3, v6, v3, v1
	s_addc_u32 s13, s13, 0
	v_mov_b64_e32 v[6:7], s[6:7]
	s_add_u32 s16, s16, 8
	v_cmp_ge_u64_e32 vcc, s[14:15], v[6:7]
	s_addc_u32 s17, s17, 0
	s_cbranch_vccnz .LBB0_9
; %bb.7:                                ;   in Loop: Header=BB0_2 Depth=1
	v_mov_b64_e32 v[6:7], v[8:9]
	s_branch .LBB0_2
.LBB0_8:
	v_mov_b64_e32 v[8:9], v[6:7]
.LBB0_9:
	s_lshl_b64 s[2:3], s[6:7], 3
	s_add_u32 s2, s10, s2
	s_addc_u32 s3, s11, s3
	s_load_dwordx2 s[6:7], s[2:3], 0x0
	s_load_dwordx2 s[10:11], s[0:1], 0x20
	s_mov_b32 s2, 0x1e573ad
	s_waitcnt lgkmcnt(0)
	v_mul_lo_u32 v1, s6, v9
	v_mul_lo_u32 v4, s7, v8
	v_mad_u64_u32 v[2:3], s[0:1], s6, v8, v[2:3]
	v_add3_u32 v3, v4, v3, v1
	v_mul_hi_u32 v1, v0, s2
	v_mul_u32_u24_e32 v1, 0x87, v1
	v_cmp_gt_u64_e64 s[0:1], s[10:11], v[8:9]
	v_sub_u32_e32 v16, v0, v1
	v_lshl_add_u64 v[18:19], v[2:3], 3, s[8:9]
	s_and_saveexec_b64 s[2:3], s[0:1]
	s_cbranch_execz .LBB0_13
; %bb.10:
	v_mov_b32_e32 v17, 0
	v_lshl_add_u64 v[0:1], v[16:17], 3, v[18:19]
	v_add_co_u32_e32 v10, vcc, 0x1000, v0
	global_load_dwordx2 v[2:3], v[0:1], off
	global_load_dwordx2 v[4:5], v[0:1], off offset:1080
	global_load_dwordx2 v[6:7], v[0:1], off offset:2160
	;; [unrolled: 1-line block ×3, first 2 shown]
	v_addc_co_u32_e32 v11, vcc, 0, v1, vcc
	v_add_co_u32_e32 v0, vcc, 0x2000, v0
	global_load_dwordx2 v[12:13], v[10:11], off offset:224
	global_load_dwordx2 v[14:15], v[10:11], off offset:1304
	;; [unrolled: 1-line block ×4, first 2 shown]
	v_addc_co_u32_e32 v1, vcc, 0, v1, vcc
	global_load_dwordx2 v[10:11], v[0:1], off offset:448
	global_load_dwordx2 v[24:25], v[0:1], off offset:1528
	s_movk_i32 s6, 0x86
	v_lshl_add_u32 v0, v16, 3, 0
	v_cmp_eq_u32_e32 vcc, s6, v16
	v_add_u32_e32 v1, 0x800, v0
	v_add_u32_e32 v26, 0x1000, v0
	;; [unrolled: 1-line block ×4, first 2 shown]
	s_waitcnt vmcnt(8)
	ds_write2_b64 v0, v[2:3], v[4:5] offset1:135
	s_waitcnt vmcnt(6)
	ds_write2_b64 v1, v[6:7], v[8:9] offset0:14 offset1:149
	s_waitcnt vmcnt(4)
	ds_write2_b64 v26, v[12:13], v[14:15] offset0:28 offset1:163
	;; [unrolled: 2-line block ×4, first 2 shown]
	s_and_saveexec_b64 s[6:7], vcc
	s_cbranch_execz .LBB0_12
; %bb.11:
	v_add_co_u32_e32 v0, vcc, 0x2000, v18
	v_mov_b32_e32 v16, 0x86
	s_nop 0
	v_addc_co_u32_e32 v1, vcc, 0, v19, vcc
	global_load_dwordx2 v[0:1], v[0:1], off offset:2608
	s_waitcnt vmcnt(0)
	ds_write_b64 v17, v[0:1] offset:10800
.LBB0_12:
	s_or_b64 exec, exec, s[6:7]
.LBB0_13:
	s_or_b64 exec, exec, s[2:3]
	v_lshlrev_b32_e32 v0, 3, v16
	v_add_u32_e32 v32, 0, v0
	s_waitcnt lgkmcnt(0)
	s_barrier
	v_sub_u32_e32 v4, 0, v0
	ds_read_b32 v1, v32
	ds_read_b32 v2, v4 offset:10800
	s_add_u32 s2, s4, 0x2a08
	s_addc_u32 s3, s5, 0
	v_cmp_ne_u32_e32 vcc, 0, v16
	s_waitcnt lgkmcnt(0)
	v_add_f32_e32 v0, v2, v1
	v_sub_f32_e32 v1, v1, v2
                                        ; implicit-def: $vgpr2_vgpr3
	s_and_saveexec_b64 s[6:7], vcc
	s_xor_b64 s[6:7], exec, s[6:7]
	s_cbranch_execz .LBB0_15
; %bb.14:
	v_mov_b32_e32 v17, 0
	v_lshl_add_u64 v[2:3], v[16:17], 3, s[2:3]
	global_load_dwordx2 v[6:7], v[2:3], off
	ds_read_b32 v5, v4 offset:10804
	ds_read_b32 v11, v32 offset:4
	v_mov_b32_e32 v8, v1
	v_mov_b32_e32 v10, v0
	;; [unrolled: 1-line block ×3, first 2 shown]
	v_mov_b64_e32 v[2:3], v[16:17]
	s_waitcnt lgkmcnt(0)
	v_add_f32_e32 v9, v5, v11
	v_sub_f32_e32 v11, v11, v5
	v_mov_b32_e32 v12, v9
	s_waitcnt vmcnt(0)
	v_pk_mul_f32 v[14:15], v[8:9], v[6:7] op_sel:[0,1]
	v_pk_fma_f32 v[8:9], v[8:9], v[6:7], v[10:11] op_sel:[0,1,0]
	v_mov_b32_e32 v1, v15
	v_mov_b32_e32 v15, v11
	v_pk_fma_f32 v[20:21], v[6:7], v[12:13], v[8:9] neg_lo:[1,0,0] neg_hi:[1,0,0]
	v_pk_fma_f32 v[8:9], v[6:7], v[12:13], v[8:9] op_sel_hi:[0,1,1]
	v_pk_add_f32 v[0:1], v[0:1], v[14:15] neg_lo:[0,1] neg_hi:[0,1]
	v_mov_b32_e32 v21, v9
	v_pk_fma_f32 v[0:1], v[6:7], v[12:13], v[0:1] op_sel_hi:[0,1,1]
	ds_write_b64 v4, v[0:1] offset:10800
	v_mov_b64_e32 v[0:1], v[20:21]
.LBB0_15:
	s_andn2_saveexec_b64 s[6:7], s[6:7]
	s_cbranch_execz .LBB0_17
; %bb.16:
	v_mov_b32_e32 v5, 0
	ds_read_b64 v[2:3], v5 offset:5400
	s_mov_b32 s8, 2.0
	s_mov_b32 s9, -2.0
	s_waitcnt lgkmcnt(0)
	v_pk_mul_f32 v[2:3], v[2:3], s[8:9]
	ds_write_b64 v5, v[2:3] offset:5400
	v_mov_b64_e32 v[2:3], 0
.LBB0_17:
	s_or_b64 exec, exec, s[6:7]
	v_lshl_add_u64 v[2:3], v[2:3], 3, s[2:3]
	global_load_dwordx2 v[6:7], v[2:3], off offset:1080
	global_load_dwordx2 v[8:9], v[2:3], off offset:2160
	;; [unrolled: 1-line block ×3, first 2 shown]
	s_movk_i32 s2, 0x1000
	v_add_co_u32_e32 v2, vcc, s2, v2
	ds_write_b64 v32, v[0:1]
	s_nop 0
	v_addc_co_u32_e32 v3, vcc, 0, v3, vcc
	global_load_dwordx2 v[2:3], v[2:3], off offset:224
	ds_read_b64 v[0:1], v4 offset:9720
	ds_read_b64 v[12:13], v32 offset:1080
	v_add_u32_e32 v33, 0x800, v32
	v_add_u32_e32 v58, 0x1000, v32
	;; [unrolled: 1-line block ×4, first 2 shown]
	s_waitcnt lgkmcnt(0)
	v_pk_add_f32 v[14:15], v[12:13], v[0:1]
	v_pk_add_f32 v[0:1], v[12:13], v[0:1] neg_lo:[0,1] neg_hi:[0,1]
	v_mov_b32_e32 v12, v15
	v_mov_b32_e32 v13, v0
	;; [unrolled: 1-line block ×3, first 2 shown]
	s_mov_b32 s2, 0x3f737871
	s_mov_b32 s8, 0x3f167918
	;; [unrolled: 1-line block ×3, first 2 shown]
	v_lshl_add_u32 v17, v16, 5, v32
	s_mov_b32 s10, 0x3f4f1bbd
	s_mov_b32 s12, 0xbf167918
	;; [unrolled: 1-line block ×3, first 2 shown]
	v_cmp_gt_u32_e32 vcc, 45, v16
	s_waitcnt vmcnt(3)
	v_pk_mul_f32 v[20:21], v[12:13], v[6:7] op_sel:[0,1]
	s_nop 0
	v_pk_add_f32 v[22:23], v[14:15], v[20:21] op_sel:[0,1] op_sel_hi:[1,0]
	v_mov_b32_e32 v15, v20
	v_mov_b32_e32 v0, v21
	v_pk_fma_f32 v[20:21], v[6:7], v[12:13], v[22:23] neg_lo:[1,0,0] neg_hi:[1,0,0]
	v_pk_fma_f32 v[22:23], v[6:7], v[12:13], v[22:23] op_sel_hi:[0,1,1]
	v_pk_add_f32 v[0:1], v[14:15], v[0:1] neg_lo:[0,1] neg_hi:[0,1]
	v_mov_b32_e32 v21, v23
	v_pk_fma_f32 v[0:1], v[6:7], v[12:13], v[0:1] op_sel_hi:[0,1,1]
	ds_write_b64 v32, v[20:21] offset:1080
	ds_write_b64 v4, v[0:1] offset:9720
	ds_read_b64 v[0:1], v4 offset:8640
	ds_read_b64 v[6:7], v32 offset:2160
	s_waitcnt lgkmcnt(0)
	v_pk_add_f32 v[12:13], v[6:7], v[0:1]
	v_pk_add_f32 v[0:1], v[6:7], v[0:1] neg_lo:[0,1] neg_hi:[0,1]
	v_mov_b32_e32 v6, v13
	v_mov_b32_e32 v7, v0
	v_mov_b32_e32 v13, v1
	s_waitcnt vmcnt(2)
	v_pk_mul_f32 v[14:15], v[6:7], v[8:9] op_sel:[0,1]
	s_nop 0
	v_pk_add_f32 v[20:21], v[12:13], v[14:15] op_sel:[0,1] op_sel_hi:[1,0]
	v_mov_b32_e32 v13, v14
	v_mov_b32_e32 v0, v15
	v_pk_fma_f32 v[14:15], v[8:9], v[6:7], v[20:21] neg_lo:[1,0,0] neg_hi:[1,0,0]
	v_pk_fma_f32 v[20:21], v[8:9], v[6:7], v[20:21] op_sel_hi:[0,1,1]
	v_pk_add_f32 v[0:1], v[12:13], v[0:1] neg_lo:[0,1] neg_hi:[0,1]
	v_mov_b32_e32 v15, v21
	v_pk_fma_f32 v[0:1], v[8:9], v[6:7], v[0:1] op_sel_hi:[0,1,1]
	ds_write_b64 v32, v[14:15] offset:2160
	ds_write_b64 v4, v[0:1] offset:8640
	ds_read_b64 v[0:1], v4 offset:7560
	ds_read_b64 v[6:7], v32 offset:3240
	s_waitcnt lgkmcnt(0)
	v_pk_add_f32 v[8:9], v[6:7], v[0:1]
	v_pk_add_f32 v[0:1], v[6:7], v[0:1] neg_lo:[0,1] neg_hi:[0,1]
	v_mov_b32_e32 v6, v9
	v_mov_b32_e32 v7, v0
	v_mov_b32_e32 v9, v1
	;; [unrolled: 21-line block ×3, first 2 shown]
	s_waitcnt vmcnt(0)
	v_pk_mul_f32 v[10:11], v[6:7], v[2:3] op_sel:[0,1]
	s_nop 0
	v_pk_add_f32 v[12:13], v[8:9], v[10:11] op_sel:[0,1] op_sel_hi:[1,0]
	v_mov_b32_e32 v9, v10
	v_mov_b32_e32 v0, v11
	v_pk_fma_f32 v[10:11], v[2:3], v[6:7], v[12:13] neg_lo:[1,0,0] neg_hi:[1,0,0]
	v_pk_fma_f32 v[12:13], v[2:3], v[6:7], v[12:13] op_sel_hi:[0,1,1]
	v_pk_add_f32 v[0:1], v[8:9], v[0:1] neg_lo:[0,1] neg_hi:[0,1]
	v_mov_b32_e32 v11, v13
	v_pk_fma_f32 v[0:1], v[2:3], v[6:7], v[0:1] op_sel_hi:[0,1,1]
	ds_write_b64 v32, v[10:11] offset:4320
	ds_write_b64 v4, v[0:1] offset:6480
	s_waitcnt lgkmcnt(0)
	s_barrier
	s_barrier
	ds_read2_b64 v[0:3], v32 offset1:135
	ds_read2_b64 v[4:7], v33 offset0:14 offset1:149
	ds_read2_b64 v[8:11], v58 offset0:28 offset1:163
	;; [unrolled: 1-line block ×4, first 2 shown]
	s_waitcnt lgkmcnt(0)
	v_pk_add_f32 v[24:25], v[0:1], v[4:5]
	v_pk_add_f32 v[34:35], v[4:5], v[8:9] neg_lo:[0,1] neg_hi:[0,1]
	v_pk_add_f32 v[26:27], v[8:9], v[12:13]
	v_pk_add_f32 v[28:29], v[4:5], v[20:21] neg_lo:[0,1] neg_hi:[0,1]
	v_pk_add_f32 v[30:31], v[8:9], v[12:13] neg_lo:[0,1] neg_hi:[0,1]
	v_pk_add_f32 v[38:39], v[4:5], v[20:21]
	v_pk_add_f32 v[4:5], v[8:9], v[4:5] neg_lo:[0,1] neg_hi:[0,1]
	v_pk_add_f32 v[8:9], v[24:25], v[8:9]
	v_pk_fma_f32 v[24:25], v[26:27], 0.5, v[0:1] op_sel_hi:[1,0,1] neg_lo:[1,0,0] neg_hi:[1,0,0]
	v_pk_mul_f32 v[26:27], v[28:29], s[2:3] op_sel_hi:[1,0]
	v_pk_mul_f32 v[42:43], v[30:31], s[8:9] op_sel_hi:[1,0]
	v_pk_fma_f32 v[0:1], v[38:39], 0.5, v[0:1] op_sel_hi:[1,0,1] neg_lo:[1,0,0] neg_hi:[1,0,0]
	v_pk_mul_f32 v[30:31], v[30:31], s[2:3] op_sel_hi:[1,0]
	v_pk_add_f32 v[36:37], v[20:21], v[12:13] neg_lo:[0,1] neg_hi:[0,1]
	v_pk_add_f32 v[40:41], v[12:13], v[20:21] neg_lo:[0,1] neg_hi:[0,1]
	v_pk_mul_f32 v[28:29], v[28:29], s[8:9] op_sel_hi:[1,0]
	v_pk_add_f32 v[8:9], v[8:9], v[12:13]
	v_pk_add_f32 v[12:13], v[24:25], v[26:27] op_sel:[0,1] op_sel_hi:[1,0]
	v_pk_add_f32 v[24:25], v[24:25], v[26:27] op_sel:[0,1] op_sel_hi:[1,0] neg_lo:[0,1] neg_hi:[0,1]
	v_pk_add_f32 v[26:27], v[0:1], v[30:31] op_sel:[0,1] op_sel_hi:[1,0] neg_lo:[0,1] neg_hi:[0,1]
	v_pk_add_f32 v[0:1], v[0:1], v[30:31] op_sel:[0,1] op_sel_hi:[1,0]
	v_pk_add_f32 v[8:9], v[8:9], v[20:21]
	v_pk_add_f32 v[20:21], v[24:25], v[42:43] op_sel:[0,1] op_sel_hi:[1,0] neg_lo:[0,1] neg_hi:[0,1]
	v_pk_add_f32 v[12:13], v[12:13], v[42:43] op_sel:[0,1] op_sel_hi:[1,0]
	v_pk_add_f32 v[0:1], v[0:1], v[28:29] op_sel:[0,1] op_sel_hi:[1,0] neg_lo:[0,1] neg_hi:[0,1]
	v_pk_add_f32 v[26:27], v[26:27], v[28:29] op_sel:[0,1] op_sel_hi:[1,0]
	v_pk_add_f32 v[34:35], v[34:35], v[36:37]
	v_pk_add_f32 v[4:5], v[4:5], v[40:41]
	v_mov_b32_e32 v24, v12
	v_mov_b32_e32 v25, v21
	v_mov_b32_e32 v28, v26
	v_mov_b32_e32 v29, v1
	v_mov_b32_e32 v1, v27
	v_mov_b32_e32 v21, v13
	v_pk_fma_f32 v[24:25], v[34:35], s[6:7], v[24:25] op_sel_hi:[1,0,1]
	v_pk_fma_f32 v[28:29], v[4:5], s[6:7], v[28:29] op_sel_hi:[1,0,1]
	;; [unrolled: 1-line block ×4, first 2 shown]
	s_barrier
	ds_write2_b64 v17, v[8:9], v[24:25] offset1:1
	ds_write2_b64 v17, v[28:29], v[0:1] offset0:2 offset1:3
	ds_write_b64 v17, v[4:5] offset:32
	v_pk_add_f32 v[0:1], v[10:11], v[14:15]
	v_pk_add_f32 v[4:5], v[6:7], v[22:23] neg_lo:[0,1] neg_hi:[0,1]
	v_pk_fma_f32 v[0:1], v[0:1], 0.5, v[2:3] op_sel_hi:[1,0,1] neg_lo:[1,0,0] neg_hi:[1,0,0]
	v_pk_mul_f32 v[8:9], v[4:5], s[2:3] op_sel_hi:[1,0]
	v_pk_add_f32 v[20:21], v[10:11], v[14:15] neg_lo:[0,1] neg_hi:[0,1]
	v_pk_add_f32 v[26:27], v[6:7], v[10:11] neg_lo:[0,1] neg_hi:[0,1]
	;; [unrolled: 1-line block ×3, first 2 shown]
	v_pk_add_f32 v[12:13], v[2:3], v[6:7]
	v_pk_mul_f32 v[24:25], v[20:21], s[8:9] op_sel_hi:[1,0]
	v_pk_add_f32 v[26:27], v[26:27], v[28:29]
	v_pk_add_f32 v[28:29], v[0:1], v[8:9] op_sel:[0,1] op_sel_hi:[1,0]
	v_pk_add_f32 v[0:1], v[0:1], v[8:9] op_sel:[0,1] op_sel_hi:[1,0] neg_lo:[0,1] neg_hi:[0,1]
	v_pk_add_f32 v[12:13], v[12:13], v[10:11]
	v_pk_add_f32 v[0:1], v[0:1], v[24:25] op_sel:[0,1] op_sel_hi:[1,0] neg_lo:[0,1] neg_hi:[0,1]
	v_pk_add_f32 v[8:9], v[28:29], v[24:25] op_sel:[0,1] op_sel_hi:[1,0]
	v_pk_add_f32 v[12:13], v[12:13], v[14:15]
	v_mov_b32_e32 v24, v8
	v_mov_b32_e32 v25, v1
	v_add_u32_e32 v30, 0x1518, v17
	v_pk_add_f32 v[12:13], v[12:13], v[22:23]
	v_pk_fma_f32 v[24:25], v[26:27], s[6:7], v[24:25] op_sel_hi:[1,0,1]
	ds_write2_b64 v30, v[12:13], v[24:25] offset1:1
	v_pk_add_f32 v[12:13], v[6:7], v[22:23]
	v_pk_add_f32 v[6:7], v[10:11], v[6:7] neg_lo:[0,1] neg_hi:[0,1]
	v_pk_add_f32 v[10:11], v[14:15], v[22:23] neg_lo:[0,1] neg_hi:[0,1]
	v_pk_fma_f32 v[2:3], v[12:13], 0.5, v[2:3] op_sel_hi:[1,0,1] neg_lo:[1,0,0] neg_hi:[1,0,0]
	v_pk_add_f32 v[6:7], v[6:7], v[10:11]
	v_pk_mul_f32 v[10:11], v[20:21], s[2:3] op_sel_hi:[1,0]
	v_pk_mul_f32 v[4:5], v[4:5], s[8:9] op_sel_hi:[1,0]
	v_pk_add_f32 v[12:13], v[2:3], v[10:11] op_sel:[0,1] op_sel_hi:[1,0] neg_lo:[0,1] neg_hi:[0,1]
	v_pk_add_f32 v[2:3], v[2:3], v[10:11] op_sel:[0,1] op_sel_hi:[1,0]
	v_add_u32_e32 v1, 0x1528, v17
	v_pk_add_f32 v[2:3], v[2:3], v[4:5] op_sel:[0,1] op_sel_hi:[1,0] neg_lo:[0,1] neg_hi:[0,1]
	v_pk_add_f32 v[4:5], v[12:13], v[4:5] op_sel:[0,1] op_sel_hi:[1,0]
	v_mov_b32_e32 v11, v3
	v_mov_b32_e32 v10, v4
	;; [unrolled: 1-line block ×3, first 2 shown]
	v_pk_fma_f32 v[10:11], v[6:7], s[6:7], v[10:11] op_sel_hi:[1,0,1]
	v_pk_fma_f32 v[2:3], v[6:7], s[6:7], v[2:3] op_sel_hi:[1,0,1]
	ds_write2_b64 v1, v[10:11], v[2:3] offset1:1
	v_mov_b32_e32 v1, v9
	v_pk_fma_f32 v[0:1], v[26:27], s[6:7], v[0:1] op_sel_hi:[1,0,1]
	s_movk_i32 s3, 0xcd
	ds_write_b64 v17, v[0:1] offset:5432
	v_mul_lo_u16_sdwa v0, v16, s3 dst_sel:DWORD dst_unused:UNUSED_PAD src0_sel:BYTE_0 src1_sel:DWORD
	v_lshrrev_b16_e32 v17, 10, v0
	v_mul_lo_u16_e32 v0, 5, v17
	v_sub_u16_e32 v26, v16, v0
	v_mov_b32_e32 v0, 9
	v_mul_u32_u24_sdwa v0, v26, v0 dst_sel:DWORD dst_unused:UNUSED_PAD src0_sel:BYTE_0 src1_sel:DWORD
	v_lshlrev_b32_e32 v22, 3, v0
	s_waitcnt lgkmcnt(0)
	s_barrier
	global_load_dwordx4 v[0:3], v22, s[4:5]
	global_load_dwordx4 v[4:7], v22, s[4:5] offset:16
	global_load_dwordx4 v[8:11], v22, s[4:5] offset:32
	;; [unrolled: 1-line block ×3, first 2 shown]
	global_load_dwordx2 v[20:21], v22, s[4:5] offset:64
	ds_read2_b64 v[22:25], v32 offset1:135
	ds_read2_b64 v[34:37], v33 offset0:14 offset1:149
	ds_read2_b64 v[38:41], v58 offset0:28 offset1:163
	v_mov_b32_e32 v29, 3
	v_mul_u32_u24_e32 v17, 0x190, v17
	v_lshlrev_b32_sdwa v26, v29, v26 dst_sel:DWORD dst_unused:UNUSED_PAD src0_sel:DWORD src1_sel:BYTE_0
	v_add3_u32 v17, 0, v17, v26
	ds_read2_b64 v[42:45], v44 offset0:42 offset1:177
	ds_read2_b64 v[46:49], v46 offset0:56 offset1:191
	s_waitcnt lgkmcnt(0)
	s_barrier
	s_waitcnt lgkmcnt(0)
                                        ; implicit-def: $vgpr28
	s_waitcnt vmcnt(4)
	v_pk_mul_f32 v[26:27], v[0:1], v[24:25] op_sel:[0,1]
	s_nop 0
	v_pk_fma_f32 v[30:31], v[0:1], v[24:25], v[26:27] op_sel:[0,0,1] op_sel_hi:[1,1,0] neg_lo:[0,0,1] neg_hi:[0,0,1]
	v_pk_fma_f32 v[0:1], v[0:1], v[24:25], v[26:27] op_sel:[0,0,1] op_sel_hi:[1,0,0]
	s_nop 0
	v_mov_b32_e32 v31, v1
	v_pk_mul_f32 v[0:1], v[2:3], v[34:35] op_sel:[0,1]
	s_nop 0
	v_pk_fma_f32 v[24:25], v[2:3], v[34:35], v[0:1] op_sel:[0,0,1] op_sel_hi:[1,1,0] neg_lo:[0,0,1] neg_hi:[0,0,1]
	v_pk_fma_f32 v[0:1], v[2:3], v[34:35], v[0:1] op_sel:[0,0,1] op_sel_hi:[1,0,0]
	s_nop 0
	v_mov_b32_e32 v25, v1
	s_waitcnt vmcnt(3)
	v_pk_mul_f32 v[0:1], v[4:5], v[36:37] op_sel:[0,1]
	s_nop 0
	v_pk_fma_f32 v[2:3], v[4:5], v[36:37], v[0:1] op_sel:[0,0,1] op_sel_hi:[1,1,0] neg_lo:[0,0,1] neg_hi:[0,0,1]
	v_pk_fma_f32 v[0:1], v[4:5], v[36:37], v[0:1] op_sel:[0,0,1] op_sel_hi:[1,0,0]
	s_nop 0
	v_mov_b32_e32 v3, v1
	v_pk_mul_f32 v[0:1], v[6:7], v[38:39] op_sel:[0,1]
	s_nop 0
	v_pk_fma_f32 v[4:5], v[6:7], v[38:39], v[0:1] op_sel:[0,0,1] op_sel_hi:[1,1,0] neg_lo:[0,0,1] neg_hi:[0,0,1]
	v_pk_fma_f32 v[0:1], v[6:7], v[38:39], v[0:1] op_sel:[0,0,1] op_sel_hi:[1,0,0]
	s_nop 0
	v_mov_b32_e32 v5, v1
	s_waitcnt vmcnt(2)
	v_pk_mul_f32 v[0:1], v[8:9], v[40:41] op_sel:[0,1]
	s_nop 0
	v_pk_fma_f32 v[6:7], v[8:9], v[40:41], v[0:1] op_sel:[0,0,1] op_sel_hi:[1,1,0] neg_lo:[0,0,1] neg_hi:[0,0,1]
	v_pk_fma_f32 v[0:1], v[8:9], v[40:41], v[0:1] op_sel:[0,0,1] op_sel_hi:[1,0,0]
	s_nop 0
	v_mov_b32_e32 v0, v11
	v_mov_b32_e32 v7, v1
	v_pk_mul_f32 v[0:1], v[42:43], v[0:1] op_sel_hi:[1,0]
	v_pk_add_f32 v[52:53], v[2:3], v[6:7] neg_lo:[0,1] neg_hi:[0,1]
	v_pk_fma_f32 v[8:9], v[42:43], v[10:11], v[0:1] op_sel:[0,0,1] op_sel_hi:[1,1,0] neg_lo:[0,0,1] neg_hi:[0,0,1]
	v_pk_fma_f32 v[0:1], v[42:43], v[10:11], v[0:1] op_sel:[0,0,1] op_sel_hi:[1,0,0]
	s_nop 0
	v_mov_b32_e32 v9, v1
	s_waitcnt vmcnt(1)
	v_pk_mul_f32 v[0:1], v[44:45], v[12:13] op_sel:[0,1]
	v_pk_add_f32 v[40:41], v[4:5], v[8:9] neg_lo:[0,1] neg_hi:[0,1]
	v_pk_fma_f32 v[10:11], v[44:45], v[12:13], v[0:1] op_sel:[0,0,1] op_sel_hi:[1,1,0] neg_lo:[0,0,1] neg_hi:[0,0,1]
	v_pk_fma_f32 v[0:1], v[44:45], v[12:13], v[0:1] op_sel:[0,0,1] op_sel_hi:[1,0,0]
	v_pk_mul_f32 v[42:43], v[40:41], s[8:9] op_sel_hi:[1,0]
	v_mov_b32_e32 v0, v15
	v_mov_b32_e32 v11, v1
	v_pk_mul_f32 v[0:1], v[46:47], v[0:1] op_sel_hi:[1,0]
	s_nop 0
	v_pk_fma_f32 v[12:13], v[46:47], v[14:15], v[0:1] op_sel:[0,0,1] op_sel_hi:[1,1,0] neg_lo:[0,0,1] neg_hi:[0,0,1]
	v_pk_fma_f32 v[0:1], v[46:47], v[14:15], v[0:1] op_sel:[0,0,1] op_sel_hi:[1,0,0]
	s_nop 0
	v_mov_b32_e32 v13, v1
	s_waitcnt vmcnt(0)
	v_pk_mul_f32 v[0:1], v[48:49], v[20:21] op_sel:[0,1]
	v_pk_add_f32 v[34:35], v[24:25], v[12:13] neg_lo:[0,1] neg_hi:[0,1]
	v_pk_fma_f32 v[14:15], v[48:49], v[20:21], v[0:1] op_sel:[0,0,1] op_sel_hi:[1,1,0] neg_lo:[0,0,1] neg_hi:[0,0,1]
	v_pk_fma_f32 v[0:1], v[48:49], v[20:21], v[0:1] op_sel:[0,0,1] op_sel_hi:[1,0,0]
	v_pk_add_f32 v[20:21], v[30:31], v[2:3]
	v_mov_b32_e32 v15, v1
	v_pk_add_f32 v[20:21], v[20:21], v[6:7]
	v_pk_mul_f32 v[36:37], v[34:35], s[2:3] op_sel_hi:[1,0]
	v_pk_add_f32 v[20:21], v[20:21], v[10:11]
	v_pk_add_f32 v[44:45], v[2:3], v[14:15] neg_lo:[0,1] neg_hi:[0,1]
	v_pk_add_f32 v[26:27], v[20:21], v[14:15]
	v_pk_add_f32 v[20:21], v[4:5], v[8:9]
	v_pk_mul_f32 v[46:47], v[44:45], s[2:3] op_sel_hi:[1,0]
	v_pk_fma_f32 v[20:21], v[20:21], 0.5, v[22:23] op_sel_hi:[1,0,1] neg_lo:[1,0,0] neg_hi:[1,0,0]
	v_pk_add_f32 v[48:49], v[6:7], v[10:11] neg_lo:[0,1] neg_hi:[0,1]
	v_pk_add_f32 v[38:39], v[20:21], v[36:37] op_sel:[0,1] op_sel_hi:[1,0] neg_lo:[0,1] neg_hi:[0,1]
	v_pk_add_f32 v[20:21], v[20:21], v[36:37] op_sel:[0,1] op_sel_hi:[1,0]
	v_pk_add_f32 v[38:39], v[38:39], v[42:43] op_sel:[0,1] op_sel_hi:[1,0] neg_lo:[0,1] neg_hi:[0,1]
	v_pk_add_f32 v[20:21], v[42:43], v[20:21] op_sel:[1,0] op_sel_hi:[0,1]
	v_pk_add_f32 v[36:37], v[24:25], v[4:5] neg_lo:[0,1] neg_hi:[0,1]
	v_pk_add_f32 v[42:43], v[12:13], v[8:9] neg_lo:[0,1] neg_hi:[0,1]
	v_pk_add_f32 v[54:55], v[14:15], v[10:11] neg_lo:[0,1] neg_hi:[0,1]
	v_pk_add_f32 v[36:37], v[36:37], v[42:43]
	v_pk_add_f32 v[42:43], v[6:7], v[10:11]
	v_pk_mul_f32 v[50:51], v[48:49], s[8:9] op_sel_hi:[1,0]
	v_pk_fma_f32 v[42:43], v[42:43], 0.5, v[30:31] op_sel_hi:[1,0,1] neg_lo:[1,0,0] neg_hi:[1,0,0]
	v_pk_add_f32 v[52:53], v[52:53], v[54:55]
	v_pk_add_f32 v[54:55], v[42:43], v[46:47] op_sel:[0,1] op_sel_hi:[1,0]
	v_pk_add_f32 v[42:43], v[42:43], v[46:47] op_sel:[0,1] op_sel_hi:[1,0] neg_lo:[0,1] neg_hi:[0,1]
	v_pk_add_f32 v[46:47], v[54:55], v[50:51] op_sel:[0,1] op_sel_hi:[1,0]
	v_pk_add_f32 v[42:43], v[42:43], v[50:51] op_sel:[0,1] op_sel_hi:[1,0] neg_lo:[0,1] neg_hi:[0,1]
	v_mov_b32_e32 v50, v46
	v_mov_b32_e32 v51, v43
	v_pk_fma_f32 v[50:51], v[52:53], s[6:7], v[50:51] op_sel_hi:[1,0,1]
	v_pk_add_f32 v[0:1], v[22:23], v[24:25]
	v_pk_mul_f32 v[54:55], v[50:51], s[8:9] op_sel_hi:[1,0]
	v_mov_b32_e32 v43, v47
	v_pk_add_f32 v[0:1], v[0:1], v[4:5]
	v_pk_fma_f32 v[56:57], v[50:51], s[10:11], v[54:55] op_sel:[0,0,1] op_sel_hi:[1,0,0]
	v_pk_fma_f32 v[50:51], v[50:51], s[10:11], v[54:55] op_sel:[0,0,1] op_sel_hi:[1,0,0] neg_lo:[0,0,1] neg_hi:[0,0,1]
	v_pk_fma_f32 v[42:43], v[52:53], s[6:7], v[42:43] op_sel_hi:[1,0,1]
	v_pk_add_f32 v[0:1], v[0:1], v[8:9]
	v_mov_b32_e32 v57, v51
	v_mov_b32_e32 v50, v20
	;; [unrolled: 1-line block ×3, first 2 shown]
	v_pk_mul_f32 v[52:53], v[42:43], s[12:13]
	v_mov_b32_e32 v39, v21
	v_pk_add_f32 v[4:5], v[4:5], v[24:25] neg_lo:[0,1] neg_hi:[0,1]
	v_pk_add_f32 v[8:9], v[8:9], v[12:13] neg_lo:[0,1] neg_hi:[0,1]
	v_pk_fma_f32 v[50:51], v[36:37], s[6:7], v[50:51] op_sel_hi:[1,0,1]
	v_pk_fma_f32 v[36:37], v[36:37], s[6:7], v[38:39] op_sel_hi:[1,0,1]
	v_pk_fma_f32 v[38:39], v[42:43], s[10:11], v[52:53] op_sel:[0,0,1] op_sel_hi:[1,0,0] neg_lo:[1,0,0] neg_hi:[1,0,0]
	v_pk_add_f32 v[42:43], v[24:25], v[12:13]
	v_pk_add_f32 v[4:5], v[4:5], v[8:9]
	;; [unrolled: 1-line block ×3, first 2 shown]
	v_pk_add_f32 v[2:3], v[6:7], v[2:3] neg_lo:[0,1] neg_hi:[0,1]
	v_pk_add_f32 v[6:7], v[10:11], v[14:15] neg_lo:[0,1] neg_hi:[0,1]
	v_pk_fma_f32 v[22:23], v[42:43], 0.5, v[22:23] op_sel_hi:[1,0,1] neg_lo:[1,0,0] neg_hi:[1,0,0]
	v_pk_fma_f32 v[8:9], v[8:9], 0.5, v[30:31] op_sel_hi:[1,0,1] neg_lo:[1,0,0] neg_hi:[1,0,0]
	v_pk_add_f32 v[2:3], v[2:3], v[6:7]
	v_pk_mul_f32 v[6:7], v[40:41], s[2:3] op_sel_hi:[1,0]
	v_pk_mul_f32 v[14:15], v[48:49], s[2:3] op_sel_hi:[1,0]
	v_pk_add_f32 v[0:1], v[0:1], v[12:13]
	v_pk_add_f32 v[12:13], v[22:23], v[6:7] op_sel:[0,1] op_sel_hi:[1,0] neg_lo:[0,1] neg_hi:[0,1]
	v_pk_add_f32 v[6:7], v[22:23], v[6:7] op_sel:[0,1] op_sel_hi:[1,0]
	v_pk_mul_f32 v[22:23], v[44:45], s[8:9] op_sel_hi:[1,0]
	v_pk_add_f32 v[24:25], v[8:9], v[14:15] op_sel:[0,1] op_sel_hi:[1,0] neg_lo:[0,1] neg_hi:[0,1]
	v_pk_add_f32 v[8:9], v[8:9], v[14:15] op_sel:[0,1] op_sel_hi:[1,0]
	v_pk_add_f32 v[14:15], v[24:25], v[22:23] op_sel:[0,1] op_sel_hi:[1,0]
	v_pk_add_f32 v[8:9], v[8:9], v[22:23] op_sel:[0,1] op_sel_hi:[1,0] neg_lo:[0,1] neg_hi:[0,1]
	v_pk_mul_f32 v[10:11], v[34:35], s[8:9] op_sel_hi:[1,0]
	v_mov_b32_e32 v22, v14
	v_mov_b32_e32 v23, v9
	v_pk_add_f32 v[6:7], v[6:7], v[10:11] op_sel:[0,1] op_sel_hi:[1,0] neg_lo:[0,1] neg_hi:[0,1]
	v_pk_add_f32 v[10:11], v[12:13], v[10:11] op_sel:[0,1] op_sel_hi:[1,0]
	v_pk_fma_f32 v[22:23], v[2:3], s[6:7], v[22:23] op_sel_hi:[1,0,1]
	v_mov_b32_e32 v9, v15
	v_mov_b32_e32 v12, v10
	;; [unrolled: 1-line block ×3, first 2 shown]
	v_pk_mul_f32 v[24:25], v[22:23], s[2:3] op_sel_hi:[1,0]
	v_mov_b32_e32 v7, v11
	v_pk_fma_f32 v[2:3], v[2:3], s[6:7], v[8:9] op_sel_hi:[1,0,1]
	v_pk_fma_f32 v[12:13], v[4:5], s[6:7], v[12:13] op_sel_hi:[1,0,1]
	v_pk_fma_f32 v[30:31], v[22:23], s[6:7], v[24:25] op_sel:[0,0,1] op_sel_hi:[1,0,0]
	v_pk_fma_f32 v[22:23], v[22:23], s[6:7], v[24:25] op_sel:[0,0,1] op_sel_hi:[1,0,0] neg_lo:[0,0,1] neg_hi:[0,0,1]
	v_pk_fma_f32 v[4:5], v[4:5], s[6:7], v[6:7] op_sel_hi:[1,0,1]
	s_mov_b32 s8, 0xbf737871
	s_mov_b32 s9, s2
	v_pk_mul_f32 v[6:7], v[2:3], s[6:7] op_sel_hi:[1,0]
	v_mov_b32_e32 v31, v23
	v_pk_fma_f32 v[2:3], v[2:3], s[8:9], v[6:7] op_sel:[0,0,1] op_sel_hi:[1,1,0] neg_lo:[0,0,1] neg_hi:[0,0,1]
	v_pk_add_f32 v[22:23], v[12:13], v[30:31]
	v_pk_add_f32 v[6:7], v[4:5], v[2:3] op_sel:[0,1] op_sel_hi:[1,0]
	v_pk_add_f32 v[54:55], v[0:1], v[26:27]
	ds_write2_b64 v17, v[22:23], v[6:7] offset0:10 offset1:15
	v_pk_add_f32 v[6:7], v[36:37], v[38:39]
	v_pk_add_f32 v[0:1], v[0:1], v[26:27] neg_lo:[0,1] neg_hi:[0,1]
	ds_write2_b64 v17, v[6:7], v[0:1] offset0:20 offset1:25
	v_pk_add_f32 v[0:1], v[50:51], v[56:57] neg_lo:[0,1] neg_hi:[0,1]
	v_pk_add_f32 v[6:7], v[12:13], v[30:31] neg_lo:[0,1] neg_hi:[0,1]
	v_pk_add_f32 v[46:47], v[50:51], v[56:57]
	v_pk_add_f32 v[20:21], v[36:37], v[38:39] neg_lo:[0,1] neg_hi:[0,1]
	ds_write2_b64 v17, v[0:1], v[6:7] offset0:30 offset1:35
	v_pk_add_f32 v[0:1], v[4:5], v[2:3] op_sel:[0,1] op_sel_hi:[1,0] neg_lo:[0,1] neg_hi:[0,1]
	v_add_u32_e32 v8, 0x1c00, v32
	ds_write2_b64 v17, v[54:55], v[46:47] offset1:5
	ds_write2_b64 v17, v[0:1], v[20:21] offset0:40 offset1:45
	s_waitcnt lgkmcnt(0)
	s_barrier
	ds_read2_b64 v[4:7], v32 offset1:135
	ds_read2_b64 v[0:3], v33 offset0:14 offset1:194
	ds_read2_b64 v[8:11], v8 offset0:4 offset1:139
	;; [unrolled: 1-line block ×3, first 2 shown]
	ds_read_b64 v[22:23], v32 offset:9360
                                        ; implicit-def: $vgpr24
                                        ; implicit-def: $vgpr26
                                        ; implicit-def: $vgpr30
	s_and_saveexec_b64 s[2:3], vcc
	s_cbranch_execz .LBB0_19
; %bb.18:
	ds_read_b64 v[24:25], v32 offset:6840
	ds_read_b64 v[26:27], v32 offset:10440
	;; [unrolled: 1-line block ×3, first 2 shown]
	s_waitcnt lgkmcnt(2)
	v_mov_b32_e32 v28, v25
	s_waitcnt lgkmcnt(1)
	v_mov_b32_e32 v30, v27
.LBB0_19:
	s_or_b64 exec, exec, s[2:3]
	v_add_u32_e32 v33, 0x10e, v16
	v_lshrrev_b16_e32 v35, 1, v33
	v_mul_u32_u24_e32 v25, 0x147b, v35
	v_add_u32_e32 v17, 0x195, v16
	v_lshrrev_b32_e32 v31, 17, v25
	v_mul_lo_u16_e32 v25, 50, v31
	v_lshrrev_b16_e32 v36, 1, v17
	v_add_u32_e32 v34, 0x87, v16
	v_sub_u16_e32 v37, v33, v25
	v_mul_u32_u24_e32 v25, 0x147b, v36
	v_lshrrev_b16_e32 v27, 1, v34
	v_lshrrev_b32_e32 v25, 17, v25
	v_mul_lo_u16_e32 v25, 50, v25
	v_mul_u32_u24_e32 v27, 0x147b, v27
	v_mov_b32_e32 v50, 41
	v_sub_u16_e32 v25, v17, v25
	v_lshrrev_b32_e32 v27, 17, v27
	v_mul_lo_u16_sdwa v50, v16, v50 dst_sel:DWORD dst_unused:UNUSED_PAD src0_sel:BYTE_0 src1_sel:DWORD
	v_lshlrev_b32_e32 v38, 4, v25
	v_mul_lo_u16_e32 v46, 50, v27
	v_lshrrev_b16_e32 v55, 11, v50
	global_load_dwordx4 v[38:41], v38, s[4:5] offset:360
	v_lshlrev_b32_e32 v42, 4, v37
	global_load_dwordx4 v[42:45], v42, s[4:5] offset:360
	v_sub_u16_e32 v54, v34, v46
	v_mul_lo_u16_e32 v50, 50, v55
	v_lshlrev_b32_e32 v46, 4, v54
	v_sub_u16_e32 v56, v16, v50
	v_mov_b32_e32 v50, 4
	global_load_dwordx4 v[46:49], v46, s[4:5] offset:360
	v_lshlrev_b32_sdwa v50, v50, v56 dst_sel:DWORD dst_unused:UNUSED_PAD src0_sel:DWORD src1_sel:BYTE_0
	global_load_dwordx4 v[50:53], v50, s[4:5] offset:360
	v_mul_u32_u24_e32 v55, 0x4b0, v55
	v_lshlrev_b32_sdwa v29, v29, v56 dst_sel:DWORD dst_unused:UNUSED_PAD src0_sel:DWORD src1_sel:BYTE_0
	v_mul_u32_u24_e32 v27, 0x4b0, v27
	v_mul_u32_u24_e32 v31, 0x4b0, v31
	v_add3_u32 v60, 0, v55, v29
	v_lshlrev_b32_e32 v29, 3, v54
	v_lshlrev_b32_e32 v37, 3, v37
	v_add3_u32 v61, 0, v27, v29
	v_add3_u32 v37, 0, v31, v37
	s_mov_b32 s2, 0x3f5db3d7
	s_waitcnt lgkmcnt(0)
	s_barrier
	s_waitcnt vmcnt(3)
	v_pk_mul_f32 v[28:29], v[28:29], v[38:39] op_sel_hi:[0,1]
	v_pk_mul_f32 v[30:31], v[30:31], v[40:41] op_sel_hi:[0,1]
	s_waitcnt vmcnt(2)
	v_pk_mul_f32 v[54:55], v[42:43], v[14:15] op_sel:[0,1]
	v_pk_fma_f32 v[56:57], v[24:25], v[38:39], v[28:29] op_sel:[0,0,1] op_sel_hi:[1,1,0] neg_lo:[0,0,1] neg_hi:[0,0,1]
	v_pk_fma_f32 v[28:29], v[24:25], v[38:39], v[28:29] op_sel:[0,0,1] op_sel_hi:[0,1,0]
	v_pk_fma_f32 v[38:39], v[26:27], v[40:41], v[30:31] op_sel:[0,0,1] op_sel_hi:[1,1,0] neg_lo:[0,0,1] neg_hi:[0,0,1]
	v_pk_fma_f32 v[26:27], v[26:27], v[40:41], v[30:31] op_sel:[0,0,1] op_sel_hi:[0,1,0]
	v_pk_mul_f32 v[30:31], v[44:45], v[22:23] op_sel:[0,1]
	s_waitcnt vmcnt(1)
	v_pk_mul_f32 v[40:41], v[46:47], v[12:13] op_sel:[0,1]
	v_pk_fma_f32 v[58:59], v[44:45], v[22:23], v[30:31] op_sel:[0,0,1] op_sel_hi:[1,1,0] neg_lo:[0,0,1] neg_hi:[0,0,1]
	v_pk_fma_f32 v[22:23], v[44:45], v[22:23], v[30:31] op_sel:[0,0,1] op_sel_hi:[1,0,0]
	v_pk_fma_f32 v[30:31], v[42:43], v[14:15], v[54:55] op_sel:[0,0,1] op_sel_hi:[1,1,0] neg_lo:[0,0,1] neg_hi:[0,0,1]
	v_pk_fma_f32 v[14:15], v[42:43], v[14:15], v[54:55] op_sel:[0,0,1] op_sel_hi:[1,0,0]
	v_pk_mul_f32 v[42:43], v[48:49], v[10:11] op_sel:[0,1]
	v_pk_fma_f32 v[44:45], v[46:47], v[12:13], v[40:41] op_sel:[0,0,1] op_sel_hi:[1,1,0] neg_lo:[0,0,1] neg_hi:[0,0,1]
	v_pk_fma_f32 v[12:13], v[46:47], v[12:13], v[40:41] op_sel:[0,0,1] op_sel_hi:[1,0,0]
	s_waitcnt vmcnt(0)
	v_pk_mul_f32 v[40:41], v[50:51], v[2:3] op_sel:[0,1]
	v_pk_fma_f32 v[46:47], v[48:49], v[10:11], v[42:43] op_sel:[0,0,1] op_sel_hi:[1,1,0] neg_lo:[0,0,1] neg_hi:[0,0,1]
	v_pk_fma_f32 v[10:11], v[48:49], v[10:11], v[42:43] op_sel:[0,0,1] op_sel_hi:[1,0,0]
	v_pk_mul_f32 v[42:43], v[52:53], v[8:9] op_sel:[0,1]
	v_mov_b32_e32 v57, v29
	v_pk_fma_f32 v[48:49], v[52:53], v[8:9], v[42:43] op_sel:[0,0,1] op_sel_hi:[1,1,0] neg_lo:[0,0,1] neg_hi:[0,0,1]
	v_pk_fma_f32 v[8:9], v[52:53], v[8:9], v[42:43] op_sel:[0,0,1] op_sel_hi:[1,0,0]
	v_pk_fma_f32 v[42:43], v[50:51], v[2:3], v[40:41] op_sel:[0,0,1] op_sel_hi:[1,1,0] neg_lo:[0,0,1] neg_hi:[0,0,1]
	v_pk_fma_f32 v[2:3], v[50:51], v[2:3], v[40:41] op_sel:[0,0,1] op_sel_hi:[1,0,0]
	v_mov_b32_e32 v39, v27
	v_mov_b32_e32 v31, v15
	;; [unrolled: 1-line block ×6, first 2 shown]
	v_pk_add_f32 v[2:3], v[20:21], v[56:57]
	v_pk_add_f32 v[8:9], v[56:57], v[38:39]
	v_pk_add_f32 v[10:11], v[56:57], v[38:39] neg_lo:[0,1] neg_hi:[0,1]
	v_mov_b32_e32 v59, v23
	v_pk_add_f32 v[12:13], v[0:1], v[30:31]
	v_pk_add_f32 v[14:15], v[6:7], v[44:45]
	;; [unrolled: 1-line block ×5, first 2 shown]
	v_pk_fma_f32 v[2:3], v[8:9], 0.5, v[20:21] op_sel_hi:[1,0,1] neg_lo:[1,0,0] neg_hi:[1,0,0]
	v_pk_mul_f32 v[8:9], v[10:11], s[2:3] op_sel_hi:[1,0]
	v_pk_add_f32 v[10:11], v[12:13], v[58:59]
	v_pk_add_f32 v[12:13], v[14:15], v[46:47]
	;; [unrolled: 1-line block ×3, first 2 shown]
	v_pk_add_f32 v[26:27], v[2:3], v[8:9] op_sel:[0,1] op_sel_hi:[1,0]
	v_pk_add_f32 v[28:29], v[2:3], v[8:9] op_sel:[0,1] op_sel_hi:[1,0] neg_lo:[0,1] neg_hi:[0,1]
	v_pk_fma_f32 v[2:3], v[40:41], 0.5, v[4:5] op_sel_hi:[1,0,1] neg_lo:[1,0,0] neg_hi:[1,0,0]
	v_pk_add_f32 v[4:5], v[42:43], v[48:49] neg_lo:[0,1] neg_hi:[0,1]
	v_mov_b32_e32 v20, v28
	v_pk_mul_f32 v[4:5], v[4:5], s[2:3] op_sel_hi:[1,0]
	v_mov_b32_e32 v21, v27
	v_pk_add_f32 v[8:9], v[2:3], v[4:5] op_sel:[0,1] op_sel_hi:[1,0]
	v_pk_add_f32 v[2:3], v[2:3], v[4:5] op_sel:[0,1] op_sel_hi:[1,0] neg_lo:[0,1] neg_hi:[0,1]
	v_mov_b32_e32 v4, v8
	v_mov_b32_e32 v5, v3
	;; [unrolled: 1-line block ×3, first 2 shown]
	ds_write2_b64 v60, v[14:15], v[4:5] offset1:50
	ds_write_b64 v60, v[2:3] offset:800
	v_pk_add_f32 v[2:3], v[44:45], v[46:47]
	v_pk_add_f32 v[4:5], v[44:45], v[46:47] neg_lo:[0,1] neg_hi:[0,1]
	v_pk_fma_f32 v[2:3], v[2:3], 0.5, v[6:7] op_sel_hi:[1,0,1] neg_lo:[1,0,0] neg_hi:[1,0,0]
	v_pk_mul_f32 v[4:5], v[4:5], s[2:3] op_sel_hi:[1,0]
	s_nop 0
	v_pk_add_f32 v[6:7], v[2:3], v[4:5] op_sel:[0,1] op_sel_hi:[1,0]
	v_pk_add_f32 v[2:3], v[2:3], v[4:5] op_sel:[0,1] op_sel_hi:[1,0] neg_lo:[0,1] neg_hi:[0,1]
	v_mov_b32_e32 v4, v6
	v_mov_b32_e32 v5, v3
	v_mov_b32_e32 v3, v7
	ds_write_b64 v61, v[2:3] offset:800
	v_pk_add_f32 v[2:3], v[30:31], v[58:59]
	ds_write2_b64 v61, v[12:13], v[4:5] offset1:50
	v_pk_fma_f32 v[0:1], v[2:3], 0.5, v[0:1] op_sel_hi:[1,0,1] neg_lo:[1,0,0] neg_hi:[1,0,0]
	v_pk_add_f32 v[2:3], v[30:31], v[58:59] neg_lo:[0,1] neg_hi:[0,1]
	s_nop 0
	v_pk_mul_f32 v[2:3], v[2:3], s[2:3] op_sel_hi:[1,0]
	s_nop 0
	v_pk_add_f32 v[4:5], v[0:1], v[2:3] op_sel:[0,1] op_sel_hi:[1,0]
	v_pk_add_f32 v[0:1], v[0:1], v[2:3] op_sel:[0,1] op_sel_hi:[1,0] neg_lo:[0,1] neg_hi:[0,1]
	v_mov_b32_e32 v2, v4
	v_mov_b32_e32 v3, v1
	;; [unrolled: 1-line block ×3, first 2 shown]
	ds_write2_b64 v37, v[10:11], v[2:3] offset1:50
	ds_write_b64 v37, v[0:1] offset:800
	s_and_saveexec_b64 s[2:3], vcc
	s_cbranch_execz .LBB0_21
; %bb.20:
	v_lshl_add_u32 v0, v25, 3, 0
	v_mov_b32_e32 v27, v29
	v_add_u32_e32 v1, 0x2000, v0
	ds_write2_b64 v1, v[22:23], v[26:27] offset0:176 offset1:226
	ds_write_b64 v0, v[20:21] offset:10400
.LBB0_21:
	s_or_b64 exec, exec, s[2:3]
	v_add_u32_e32 v8, 0x1c00, v32
	s_waitcnt lgkmcnt(0)
	s_barrier
	v_add_u32_e32 v0, 0x800, v32
	ds_read2_b64 v[12:15], v8 offset0:4 offset1:139
	v_add_u32_e32 v8, 0x1000, v32
	ds_read2_b64 v[4:7], v32 offset1:135
	ds_read2_b64 v[0:3], v0 offset0:14 offset1:194
	ds_read2_b64 v[8:11], v8 offset0:73 offset1:208
	ds_read_b64 v[30:31], v32 offset:9360
	s_and_saveexec_b64 s[2:3], vcc
	s_cbranch_execz .LBB0_23
; %bb.22:
	ds_read_b64 v[22:23], v32 offset:3240
	ds_read_b64 v[28:29], v32 offset:6840
	;; [unrolled: 1-line block ×3, first 2 shown]
	s_waitcnt lgkmcnt(1)
	v_mov_b32_e32 v26, v28
.LBB0_23:
	s_or_b64 exec, exec, s[2:3]
	v_mul_u32_u24_e32 v28, 0xda75, v36
	v_add_u32_e32 v27, -15, v16
	v_cmp_gt_u32_e64 s[2:3], 15, v16
	v_lshrrev_b32_e32 v28, 22, v28
	v_lshlrev_b32_e32 v38, 1, v16
	v_mov_b32_e32 v39, 0
	v_cndmask_b32_e64 v27, v27, v34, s[2:3]
	v_mul_lo_u16_e32 v28, 0x96, v28
	v_lshl_add_u64 v[24:25], v[38:39], 3, s[4:5]
	v_lshlrev_b32_e32 v38, 1, v27
	v_sub_u16_e32 v36, v17, v28
	v_lshl_add_u64 v[50:51], v[38:39], 3, s[4:5]
	v_lshlrev_b32_e32 v28, 4, v36
	global_load_dwordx4 v[38:41], v[50:51], off offset:1160
	global_load_dwordx4 v[42:45], v28, s[4:5] offset:1160
	global_load_dwordx4 v[46:49], v[24:25], off offset:1160
	v_mul_u32_u24_e32 v28, 0xda75, v35
	v_lshrrev_b32_e32 v35, 22, v28
	v_mul_lo_u16_e32 v28, 0x96, v35
	v_sub_u16_e32 v37, v33, v28
	v_lshlrev_b32_e32 v28, 4, v37
	global_load_dwordx4 v[50:53], v28, s[4:5] offset:1160
	s_waitcnt lgkmcnt(0)
	v_mov_b32_e32 v54, v21
	v_mov_b32_e32 v21, 0xe10
	v_cmp_lt_u32_e64 s[2:3], 14, v16
	v_lshlrev_b32_e32 v27, 3, v27
	v_mov_b32_e32 v28, v29
	v_cndmask_b32_e64 v21, 0, v21, s[2:3]
	v_mul_u32_u24_e32 v29, 0xe10, v35
	v_add3_u32 v35, 0, v21, v27
	v_lshlrev_b32_e32 v21, 3, v37
	v_add3_u32 v37, 0, v29, v21
	s_mov_b32 s6, 0x3f5db3d7
	s_barrier
	s_waitcnt vmcnt(3)
	v_pk_mul_f32 v[56:57], v[38:39], v[8:9] op_sel:[0,1]
	s_waitcnt vmcnt(2)
	v_pk_mul_f32 v[28:29], v[28:29], v[42:43] op_sel_hi:[0,1]
	v_pk_mul_f32 v[54:55], v[54:55], v[44:45] op_sel_hi:[0,1]
	v_pk_fma_f32 v[58:59], v[26:27], v[42:43], v[28:29] op_sel:[0,0,1] op_sel_hi:[1,1,0] neg_lo:[0,0,1] neg_hi:[0,0,1]
	v_pk_fma_f32 v[26:27], v[26:27], v[42:43], v[28:29] op_sel:[0,0,1] op_sel_hi:[0,1,0]
	v_pk_mul_f32 v[42:43], v[40:41], v[14:15] op_sel:[0,1]
	v_pk_fma_f32 v[28:29], v[20:21], v[44:45], v[54:55] op_sel:[0,0,1] op_sel_hi:[1,1,0] neg_lo:[0,0,1] neg_hi:[0,0,1]
	v_pk_fma_f32 v[20:21], v[20:21], v[44:45], v[54:55] op_sel:[0,0,1] op_sel_hi:[0,1,0]
	v_pk_fma_f32 v[44:45], v[38:39], v[8:9], v[56:57] op_sel:[0,0,1] op_sel_hi:[1,1,0] neg_lo:[0,0,1] neg_hi:[0,0,1]
	v_pk_fma_f32 v[8:9], v[38:39], v[8:9], v[56:57] op_sel:[0,0,1] op_sel_hi:[1,0,0]
	;; [unrolled: 2-line block ×3, first 2 shown]
	s_waitcnt vmcnt(1)
	v_pk_mul_f32 v[40:41], v[48:49], v[12:13] op_sel:[0,1]
	v_mov_b32_e32 v59, v27
	v_pk_fma_f32 v[42:43], v[48:49], v[12:13], v[40:41] op_sel:[0,0,1] op_sel_hi:[1,1,0] neg_lo:[0,0,1] neg_hi:[0,0,1]
	v_pk_fma_f32 v[12:13], v[48:49], v[12:13], v[40:41] op_sel:[0,0,1] op_sel_hi:[1,0,0]
	v_pk_mul_f32 v[40:41], v[46:47], v[2:3] op_sel:[0,1]
	v_mov_b32_e32 v43, v13
	v_pk_fma_f32 v[48:49], v[46:47], v[2:3], v[40:41] op_sel:[0,0,1] op_sel_hi:[1,1,0] neg_lo:[0,0,1] neg_hi:[0,0,1]
	v_pk_fma_f32 v[2:3], v[46:47], v[2:3], v[40:41] op_sel:[0,0,1] op_sel_hi:[1,0,0]
	s_waitcnt vmcnt(0)
	v_pk_mul_f32 v[40:41], v[50:51], v[10:11] op_sel:[0,1]
	v_mov_b32_e32 v49, v3
	v_pk_fma_f32 v[46:47], v[50:51], v[10:11], v[40:41] op_sel:[0,0,1] op_sel_hi:[1,1,0] neg_lo:[0,0,1] neg_hi:[0,0,1]
	v_pk_fma_f32 v[10:11], v[50:51], v[10:11], v[40:41] op_sel:[0,0,1] op_sel_hi:[1,0,0]
	v_pk_mul_f32 v[40:41], v[52:53], v[30:31] op_sel:[0,1]
	v_mov_b32_e32 v29, v21
	v_pk_fma_f32 v[50:51], v[52:53], v[30:31], v[40:41] op_sel:[0,0,1] op_sel_hi:[1,1,0] neg_lo:[0,0,1] neg_hi:[0,0,1]
	v_pk_fma_f32 v[30:31], v[52:53], v[30:31], v[40:41] op_sel:[0,0,1] op_sel_hi:[1,0,0]
	v_mov_b32_e32 v47, v11
	v_pk_add_f32 v[10:11], v[48:49], v[42:43]
	v_pk_add_f32 v[12:13], v[48:49], v[42:43] neg_lo:[0,1] neg_hi:[0,1]
	v_mov_b32_e32 v45, v9
	v_mov_b32_e32 v39, v15
	;; [unrolled: 1-line block ×3, first 2 shown]
	v_pk_add_f32 v[8:9], v[4:5], v[48:49]
	v_pk_add_f32 v[14:15], v[22:23], v[58:59]
	v_pk_add_f32 v[30:31], v[58:59], v[28:29] neg_lo:[0,1] neg_hi:[0,1]
	v_pk_add_f32 v[40:41], v[0:1], v[46:47]
	v_pk_fma_f32 v[4:5], v[10:11], 0.5, v[4:5] op_sel_hi:[1,0,1] neg_lo:[1,0,0] neg_hi:[1,0,0]
	v_pk_mul_f32 v[10:11], v[12:13], s[6:7] op_sel_hi:[1,0]
	v_pk_add_f32 v[20:21], v[14:15], v[28:29]
	v_pk_mul_f32 v[14:15], v[30:31], s[6:7] op_sel_hi:[1,0]
	v_pk_add_f32 v[30:31], v[40:41], v[50:51]
	v_pk_add_f32 v[40:41], v[4:5], v[10:11] op_sel:[0,1] op_sel_hi:[1,0]
	v_pk_add_f32 v[4:5], v[4:5], v[10:11] op_sel:[0,1] op_sel_hi:[1,0] neg_lo:[0,1] neg_hi:[0,1]
	v_pk_add_f32 v[2:3], v[6:7], v[44:45]
	v_mov_b32_e32 v11, v5
	v_mov_b32_e32 v5, v41
	ds_write_b64 v32, v[4:5] offset:2400
	v_pk_add_f32 v[4:5], v[44:45], v[38:39]
	v_pk_add_f32 v[8:9], v[8:9], v[42:43]
	v_pk_fma_f32 v[4:5], v[4:5], 0.5, v[6:7] op_sel_hi:[1,0,1] neg_lo:[1,0,0] neg_hi:[1,0,0]
	v_pk_add_f32 v[6:7], v[44:45], v[38:39] neg_lo:[0,1] neg_hi:[0,1]
	v_mov_b32_e32 v10, v40
	v_pk_mul_f32 v[6:7], v[6:7], s[6:7] op_sel_hi:[1,0]
	ds_write2_b64 v32, v[8:9], v[10:11] offset1:150
	v_pk_add_f32 v[8:9], v[4:5], v[6:7] op_sel:[0,1] op_sel_hi:[1,0]
	v_pk_add_f32 v[4:5], v[4:5], v[6:7] op_sel:[0,1] op_sel_hi:[1,0] neg_lo:[0,1] neg_hi:[0,1]
	v_pk_add_f32 v[2:3], v[2:3], v[38:39]
	v_mov_b32_e32 v6, v8
	v_mov_b32_e32 v7, v5
	ds_write2_b64 v35, v[2:3], v[6:7] offset1:150
	v_pk_add_f32 v[2:3], v[46:47], v[50:51]
	v_pk_add_f32 v[26:27], v[58:59], v[28:29]
	v_pk_fma_f32 v[0:1], v[2:3], 0.5, v[0:1] op_sel_hi:[1,0,1] neg_lo:[1,0,0] neg_hi:[1,0,0]
	v_pk_add_f32 v[2:3], v[46:47], v[50:51] neg_lo:[0,1] neg_hi:[0,1]
	v_pk_fma_f32 v[12:13], v[26:27], 0.5, v[22:23] op_sel_hi:[1,0,1] neg_lo:[1,0,0] neg_hi:[1,0,0]
	v_mov_b32_e32 v5, v9
	v_pk_mul_f32 v[2:3], v[2:3], s[6:7] op_sel_hi:[1,0]
	v_pk_add_f32 v[26:27], v[12:13], v[14:15] op_sel:[0,1] op_sel_hi:[1,0]
	v_pk_add_f32 v[28:29], v[12:13], v[14:15] op_sel:[0,1] op_sel_hi:[1,0] neg_lo:[0,1] neg_hi:[0,1]
	ds_write_b64 v35, v[4:5] offset:2400
	v_pk_add_f32 v[4:5], v[0:1], v[2:3] op_sel:[0,1] op_sel_hi:[1,0]
	v_pk_add_f32 v[0:1], v[0:1], v[2:3] op_sel:[0,1] op_sel_hi:[1,0] neg_lo:[0,1] neg_hi:[0,1]
	v_mov_b32_e32 v22, v28
	v_mov_b32_e32 v23, v27
	;; [unrolled: 1-line block ×5, first 2 shown]
	ds_write2_b64 v37, v[30:31], v[2:3] offset1:150
	ds_write_b64 v37, v[0:1] offset:2400
	s_and_saveexec_b64 s[2:3], vcc
	s_cbranch_execz .LBB0_25
; %bb.24:
	v_lshl_add_u32 v0, v36, 3, 0
	v_mov_b32_e32 v27, v29
	v_add_u32_e32 v1, 0x1c00, v0
	ds_write2_b64 v1, v[20:21], v[26:27] offset0:4 offset1:154
	ds_write_b64 v0, v[22:23] offset:9600
.LBB0_25:
	s_or_b64 exec, exec, s[2:3]
	v_add_u32_e32 v35, 0x800, v32
	v_add_u32_e32 v36, 0x1c00, v32
	;; [unrolled: 1-line block ×3, first 2 shown]
	s_waitcnt lgkmcnt(0)
	s_barrier
	ds_read2_b64 v[4:7], v32 offset1:135
	ds_read2_b64 v[0:3], v35 offset0:14 offset1:194
	ds_read2_b64 v[12:15], v36 offset0:4 offset1:139
	;; [unrolled: 1-line block ×3, first 2 shown]
	ds_read_b64 v[30:31], v32 offset:9360
	s_and_saveexec_b64 s[2:3], vcc
	s_cbranch_execz .LBB0_27
; %bb.26:
	ds_read_b64 v[20:21], v32 offset:3240
	ds_read_b64 v[28:29], v32 offset:6840
	;; [unrolled: 1-line block ×3, first 2 shown]
	s_waitcnt lgkmcnt(1)
	v_mov_b32_e32 v26, v28
.LBB0_27:
	s_or_b64 exec, exec, s[2:3]
	global_load_dwordx4 v[38:41], v[24:25], off offset:3560
	v_lshlrev_b32_e32 v24, 1, v34
	v_mov_b32_e32 v25, 0
	v_lshl_add_u64 v[42:43], v[24:25], 3, s[4:5]
	v_lshlrev_b32_e32 v24, 1, v33
	global_load_dwordx4 v[42:45], v[42:43], off offset:3560
	v_lshl_add_u64 v[46:47], v[24:25], 3, s[4:5]
	global_load_dwordx4 v[46:49], v[46:47], off offset:3560
	s_mov_b32 s2, 0x3f5db3d7
	s_waitcnt lgkmcnt(0)
	s_barrier
	s_waitcnt vmcnt(2)
	v_pk_mul_f32 v[50:51], v[38:39], v[2:3] op_sel:[0,1]
	v_pk_mul_f32 v[52:53], v[40:41], v[12:13] op_sel:[0,1]
	v_pk_fma_f32 v[54:55], v[38:39], v[2:3], v[50:51] op_sel:[0,0,1] op_sel_hi:[1,1,0] neg_lo:[0,0,1] neg_hi:[0,0,1]
	v_pk_fma_f32 v[2:3], v[38:39], v[2:3], v[50:51] op_sel:[0,0,1] op_sel_hi:[1,0,0]
	v_pk_fma_f32 v[38:39], v[40:41], v[12:13], v[52:53] op_sel:[0,0,1] op_sel_hi:[1,1,0] neg_lo:[0,0,1] neg_hi:[0,0,1]
	v_pk_fma_f32 v[12:13], v[40:41], v[12:13], v[52:53] op_sel:[0,0,1] op_sel_hi:[1,0,0]
	v_mov_b32_e32 v55, v3
	v_mov_b32_e32 v39, v13
	s_waitcnt vmcnt(1)
	v_pk_mul_f32 v[2:3], v[42:43], v[8:9] op_sel:[0,1]
	v_pk_mul_f32 v[12:13], v[44:45], v[14:15] op_sel:[0,1]
	v_pk_fma_f32 v[50:51], v[42:43], v[8:9], v[2:3] op_sel:[0,0,1] op_sel_hi:[1,1,0] neg_lo:[0,0,1] neg_hi:[0,0,1]
	v_pk_fma_f32 v[2:3], v[42:43], v[8:9], v[2:3] op_sel:[0,0,1] op_sel_hi:[1,0,0]
	v_pk_fma_f32 v[8:9], v[44:45], v[14:15], v[12:13] op_sel:[0,0,1] op_sel_hi:[1,1,0] neg_lo:[0,0,1] neg_hi:[0,0,1]
	v_pk_fma_f32 v[12:13], v[44:45], v[14:15], v[12:13] op_sel:[0,0,1] op_sel_hi:[1,0,0]
	s_waitcnt vmcnt(0)
	v_pk_mul_f32 v[14:15], v[46:47], v[10:11] op_sel:[0,1]
	v_pk_mul_f32 v[42:43], v[48:49], v[30:31] op_sel:[0,1]
	v_pk_add_f32 v[44:45], v[54:55], v[38:39]
	v_pk_add_f32 v[52:53], v[54:55], v[38:39] neg_lo:[0,1] neg_hi:[0,1]
	v_pk_add_f32 v[40:41], v[4:5], v[54:55]
	v_mov_b32_e32 v51, v3
	v_mov_b32_e32 v9, v13
	v_pk_fma_f32 v[2:3], v[46:47], v[10:11], v[14:15] op_sel:[0,0,1] op_sel_hi:[1,1,0] neg_lo:[0,0,1] neg_hi:[0,0,1]
	v_pk_fma_f32 v[10:11], v[46:47], v[10:11], v[14:15] op_sel:[0,0,1] op_sel_hi:[1,0,0]
	v_pk_fma_f32 v[12:13], v[48:49], v[30:31], v[42:43] op_sel:[0,0,1] op_sel_hi:[1,1,0] neg_lo:[0,0,1] neg_hi:[0,0,1]
	v_pk_fma_f32 v[14:15], v[48:49], v[30:31], v[42:43] op_sel:[0,0,1] op_sel_hi:[1,0,0]
	v_pk_fma_f32 v[4:5], v[44:45], 0.5, v[4:5] op_sel_hi:[1,0,1] neg_lo:[1,0,0] neg_hi:[1,0,0]
	v_pk_mul_f32 v[30:31], v[52:53], s[2:3] op_sel_hi:[1,0]
	v_pk_add_f32 v[38:39], v[40:41], v[38:39]
	v_pk_add_f32 v[40:41], v[6:7], v[50:51]
	v_mov_b32_e32 v3, v11
	v_mov_b32_e32 v13, v15
	v_pk_add_f32 v[10:11], v[4:5], v[30:31] op_sel:[0,1] op_sel_hi:[1,0]
	v_pk_add_f32 v[4:5], v[4:5], v[30:31] op_sel:[0,1] op_sel_hi:[1,0] neg_lo:[0,1] neg_hi:[0,1]
	v_pk_add_f32 v[14:15], v[50:51], v[8:9]
	v_pk_add_f32 v[30:31], v[50:51], v[8:9] neg_lo:[0,1] neg_hi:[0,1]
	v_pk_add_f32 v[8:9], v[40:41], v[8:9]
	v_pk_add_f32 v[40:41], v[0:1], v[2:3]
	v_mov_b32_e32 v42, v10
	v_mov_b32_e32 v43, v5
	;; [unrolled: 1-line block ×3, first 2 shown]
	v_pk_fma_f32 v[6:7], v[14:15], 0.5, v[6:7] op_sel_hi:[1,0,1] neg_lo:[1,0,0] neg_hi:[1,0,0]
	v_pk_mul_f32 v[10:11], v[30:31], s[2:3] op_sel_hi:[1,0]
	v_pk_add_f32 v[14:15], v[2:3], v[12:13]
	v_pk_add_f32 v[2:3], v[2:3], v[12:13] neg_lo:[0,1] neg_hi:[0,1]
	ds_write2_b64 v32, v[38:39], v[8:9] offset1:135
	v_pk_add_f32 v[8:9], v[6:7], v[10:11] op_sel:[0,1] op_sel_hi:[1,0]
	v_pk_add_f32 v[6:7], v[6:7], v[10:11] op_sel:[0,1] op_sel_hi:[1,0] neg_lo:[0,1] neg_hi:[0,1]
	v_pk_fma_f32 v[0:1], v[14:15], 0.5, v[0:1] op_sel_hi:[1,0,1] neg_lo:[1,0,0] neg_hi:[1,0,0]
	v_pk_mul_f32 v[2:3], v[2:3], s[2:3] op_sel_hi:[1,0]
	v_mov_b32_e32 v10, v8
	v_mov_b32_e32 v11, v7
	;; [unrolled: 1-line block ×3, first 2 shown]
	v_pk_add_f32 v[8:9], v[0:1], v[2:3] op_sel:[0,1] op_sel_hi:[1,0]
	v_pk_add_f32 v[0:1], v[0:1], v[2:3] op_sel:[0,1] op_sel_hi:[1,0] neg_lo:[0,1] neg_hi:[0,1]
	v_pk_add_f32 v[12:13], v[40:41], v[12:13]
	v_mov_b32_e32 v2, v8
	v_mov_b32_e32 v3, v1
	ds_write2_b64 v35, v[12:13], v[42:43] offset0:14 offset1:194
	ds_write2_b64 v36, v[4:5], v[6:7] offset0:4 offset1:139
	v_mov_b32_e32 v1, v9
	ds_write2_b64 v27, v[10:11], v[2:3] offset0:73 offset1:208
	ds_write_b64 v32, v[0:1] offset:9360
	s_and_saveexec_b64 s[6:7], vcc
	s_cbranch_execz .LBB0_29
; %bb.28:
	v_subrev_u32_e32 v0, 45, v16
	v_cndmask_b32_e32 v0, v0, v17, vcc
	v_lshlrev_b32_e32 v24, 1, v0
	v_lshl_add_u64 v[0:1], v[24:25], 3, s[4:5]
	global_load_dwordx4 v[0:3], v[0:1], off offset:3560
	v_mov_b32_e32 v4, v29
	v_mov_b32_e32 v6, v23
	s_waitcnt vmcnt(0)
	v_pk_mul_f32 v[4:5], v[4:5], v[0:1] op_sel_hi:[0,1]
	v_pk_mul_f32 v[6:7], v[6:7], v[2:3] op_sel_hi:[0,1]
	v_pk_fma_f32 v[8:9], v[26:27], v[0:1], v[4:5] op_sel:[0,0,1] op_sel_hi:[1,1,0] neg_lo:[0,0,1] neg_hi:[0,0,1]
	v_pk_fma_f32 v[0:1], v[26:27], v[0:1], v[4:5] op_sel:[0,0,1] op_sel_hi:[0,1,0]
	v_pk_fma_f32 v[4:5], v[22:23], v[2:3], v[6:7] op_sel:[0,0,1] op_sel_hi:[1,1,0] neg_lo:[0,0,1] neg_hi:[0,0,1]
	v_pk_fma_f32 v[2:3], v[22:23], v[2:3], v[6:7] op_sel:[0,0,1] op_sel_hi:[0,1,0]
	v_mov_b32_e32 v9, v1
	v_mov_b32_e32 v5, v3
	v_pk_add_f32 v[0:1], v[20:21], v[8:9]
	v_pk_add_f32 v[2:3], v[8:9], v[4:5]
	v_pk_add_f32 v[6:7], v[8:9], v[4:5] neg_lo:[0,1] neg_hi:[0,1]
	v_pk_add_f32 v[0:1], v[0:1], v[4:5]
	v_pk_fma_f32 v[2:3], -0.5, v[2:3], v[20:21] op_sel_hi:[0,1,1]
	v_pk_mul_f32 v[4:5], v[6:7], s[2:3] op_sel_hi:[1,0]
	ds_write_b64 v32, v[0:1] offset:3240
	v_pk_add_f32 v[0:1], v[2:3], v[4:5] op_sel:[0,1] op_sel_hi:[1,0]
	v_pk_add_f32 v[2:3], v[2:3], v[4:5] op_sel:[0,1] op_sel_hi:[1,0] neg_lo:[0,1] neg_hi:[0,1]
	v_mov_b32_e32 v4, v0
	v_mov_b32_e32 v5, v3
	;; [unrolled: 1-line block ×3, first 2 shown]
	ds_write_b64 v32, v[4:5] offset:6840
	ds_write_b64 v32, v[2:3] offset:10440
.LBB0_29:
	s_or_b64 exec, exec, s[6:7]
	s_waitcnt lgkmcnt(0)
	s_barrier
	s_and_saveexec_b64 s[2:3], s[0:1]
	s_cbranch_execz .LBB0_31
; %bb.30:
	v_lshl_add_u32 v8, v16, 3, 0
	ds_read2_b64 v[0:3], v8 offset1:135
	v_mov_b32_e32 v17, 0
	v_add_u32_e32 v4, 0x87, v16
	v_lshl_add_u64 v[6:7], v[16:17], 3, v[18:19]
	v_mov_b32_e32 v5, v17
	s_waitcnt lgkmcnt(0)
	global_store_dwordx2 v[6:7], v[0:1], off
	v_lshl_add_u64 v[0:1], v[4:5], 3, v[18:19]
	v_add_u32_e32 v4, 0x800, v8
	ds_read2_b64 v[4:7], v4 offset0:14 offset1:149
	global_store_dwordx2 v[0:1], v[2:3], off
	v_add_u32_e32 v0, 0x10e, v16
	v_mov_b32_e32 v1, v17
	v_lshl_add_u64 v[0:1], v[0:1], 3, v[18:19]
	s_waitcnt lgkmcnt(0)
	global_store_dwordx2 v[0:1], v[4:5], off
	v_add_u32_e32 v0, 0x195, v16
	v_mov_b32_e32 v1, v17
	v_lshl_add_u64 v[4:5], v[0:1], 3, v[18:19]
	v_add_u32_e32 v0, 0x1000, v8
	ds_read2_b64 v[0:3], v0 offset0:28 offset1:163
	global_store_dwordx2 v[4:5], v[6:7], off
	v_add_u32_e32 v4, 0x21c, v16
	v_mov_b32_e32 v5, v17
	v_lshl_add_u64 v[4:5], v[4:5], 3, v[18:19]
	s_waitcnt lgkmcnt(0)
	global_store_dwordx2 v[4:5], v[0:1], off
	v_add_u32_e32 v4, 0x1800, v8
	ds_read2_b64 v[4:7], v4 offset0:42 offset1:177
	v_add_u32_e32 v0, 0x2a3, v16
	v_mov_b32_e32 v1, v17
	v_lshl_add_u64 v[0:1], v[0:1], 3, v[18:19]
	global_store_dwordx2 v[0:1], v[2:3], off
	v_add_u32_e32 v0, 0x32a, v16
	v_mov_b32_e32 v1, v17
	v_lshl_add_u64 v[0:1], v[0:1], 3, v[18:19]
	s_waitcnt lgkmcnt(0)
	global_store_dwordx2 v[0:1], v[4:5], off
	v_add_u32_e32 v0, 0x3b1, v16
	v_mov_b32_e32 v1, v17
	v_lshl_add_u64 v[4:5], v[0:1], 3, v[18:19]
	v_add_u32_e32 v0, 0x2000, v8
	ds_read2_b64 v[0:3], v0 offset0:56 offset1:191
	global_store_dwordx2 v[4:5], v[6:7], off
	v_add_u32_e32 v4, 0x438, v16
	v_mov_b32_e32 v5, v17
	v_lshl_add_u64 v[4:5], v[4:5], 3, v[18:19]
	v_add_u32_e32 v16, 0x4bf, v16
	s_waitcnt lgkmcnt(0)
	global_store_dwordx2 v[4:5], v[0:1], off
	v_lshl_add_u64 v[0:1], v[16:17], 3, v[18:19]
	global_store_dwordx2 v[0:1], v[2:3], off
.LBB0_31:
	s_endpgm
	.section	.rodata,"a",@progbits
	.p2align	6, 0x0
	.amdhsa_kernel fft_rtc_fwd_len1350_factors_5_10_3_3_3_wgs_135_tpt_135_halfLds_sp_ip_CI_unitstride_sbrr_C2R_dirReg
		.amdhsa_group_segment_fixed_size 0
		.amdhsa_private_segment_fixed_size 0
		.amdhsa_kernarg_size 88
		.amdhsa_user_sgpr_count 2
		.amdhsa_user_sgpr_dispatch_ptr 0
		.amdhsa_user_sgpr_queue_ptr 0
		.amdhsa_user_sgpr_kernarg_segment_ptr 1
		.amdhsa_user_sgpr_dispatch_id 0
		.amdhsa_user_sgpr_kernarg_preload_length 0
		.amdhsa_user_sgpr_kernarg_preload_offset 0
		.amdhsa_user_sgpr_private_segment_size 0
		.amdhsa_uses_dynamic_stack 0
		.amdhsa_enable_private_segment 0
		.amdhsa_system_sgpr_workgroup_id_x 1
		.amdhsa_system_sgpr_workgroup_id_y 0
		.amdhsa_system_sgpr_workgroup_id_z 0
		.amdhsa_system_sgpr_workgroup_info 0
		.amdhsa_system_vgpr_workitem_id 0
		.amdhsa_next_free_vgpr 62
		.amdhsa_next_free_sgpr 22
		.amdhsa_accum_offset 64
		.amdhsa_reserve_vcc 1
		.amdhsa_float_round_mode_32 0
		.amdhsa_float_round_mode_16_64 0
		.amdhsa_float_denorm_mode_32 3
		.amdhsa_float_denorm_mode_16_64 3
		.amdhsa_dx10_clamp 1
		.amdhsa_ieee_mode 1
		.amdhsa_fp16_overflow 0
		.amdhsa_tg_split 0
		.amdhsa_exception_fp_ieee_invalid_op 0
		.amdhsa_exception_fp_denorm_src 0
		.amdhsa_exception_fp_ieee_div_zero 0
		.amdhsa_exception_fp_ieee_overflow 0
		.amdhsa_exception_fp_ieee_underflow 0
		.amdhsa_exception_fp_ieee_inexact 0
		.amdhsa_exception_int_div_zero 0
	.end_amdhsa_kernel
	.text
.Lfunc_end0:
	.size	fft_rtc_fwd_len1350_factors_5_10_3_3_3_wgs_135_tpt_135_halfLds_sp_ip_CI_unitstride_sbrr_C2R_dirReg, .Lfunc_end0-fft_rtc_fwd_len1350_factors_5_10_3_3_3_wgs_135_tpt_135_halfLds_sp_ip_CI_unitstride_sbrr_C2R_dirReg
                                        ; -- End function
	.section	.AMDGPU.csdata,"",@progbits
; Kernel info:
; codeLenInByte = 7616
; NumSgprs: 28
; NumVgprs: 62
; NumAgprs: 0
; TotalNumVgprs: 62
; ScratchSize: 0
; MemoryBound: 0
; FloatMode: 240
; IeeeMode: 1
; LDSByteSize: 0 bytes/workgroup (compile time only)
; SGPRBlocks: 3
; VGPRBlocks: 7
; NumSGPRsForWavesPerEU: 28
; NumVGPRsForWavesPerEU: 62
; AccumOffset: 64
; Occupancy: 8
; WaveLimiterHint : 1
; COMPUTE_PGM_RSRC2:SCRATCH_EN: 0
; COMPUTE_PGM_RSRC2:USER_SGPR: 2
; COMPUTE_PGM_RSRC2:TRAP_HANDLER: 0
; COMPUTE_PGM_RSRC2:TGID_X_EN: 1
; COMPUTE_PGM_RSRC2:TGID_Y_EN: 0
; COMPUTE_PGM_RSRC2:TGID_Z_EN: 0
; COMPUTE_PGM_RSRC2:TIDIG_COMP_CNT: 0
; COMPUTE_PGM_RSRC3_GFX90A:ACCUM_OFFSET: 15
; COMPUTE_PGM_RSRC3_GFX90A:TG_SPLIT: 0
	.text
	.p2alignl 6, 3212836864
	.fill 256, 4, 3212836864
	.type	__hip_cuid_13be2180c731385e,@object ; @__hip_cuid_13be2180c731385e
	.section	.bss,"aw",@nobits
	.globl	__hip_cuid_13be2180c731385e
__hip_cuid_13be2180c731385e:
	.byte	0                               ; 0x0
	.size	__hip_cuid_13be2180c731385e, 1

	.ident	"AMD clang version 19.0.0git (https://github.com/RadeonOpenCompute/llvm-project roc-6.4.0 25133 c7fe45cf4b819c5991fe208aaa96edf142730f1d)"
	.section	".note.GNU-stack","",@progbits
	.addrsig
	.addrsig_sym __hip_cuid_13be2180c731385e
	.amdgpu_metadata
---
amdhsa.kernels:
  - .agpr_count:     0
    .args:
      - .actual_access:  read_only
        .address_space:  global
        .offset:         0
        .size:           8
        .value_kind:     global_buffer
      - .offset:         8
        .size:           8
        .value_kind:     by_value
      - .actual_access:  read_only
        .address_space:  global
        .offset:         16
        .size:           8
        .value_kind:     global_buffer
      - .actual_access:  read_only
        .address_space:  global
        .offset:         24
        .size:           8
        .value_kind:     global_buffer
      - .offset:         32
        .size:           8
        .value_kind:     by_value
      - .actual_access:  read_only
        .address_space:  global
        .offset:         40
        .size:           8
        .value_kind:     global_buffer
      - .actual_access:  read_only
        .address_space:  global
        .offset:         48
        .size:           8
        .value_kind:     global_buffer
      - .offset:         56
        .size:           4
        .value_kind:     by_value
      - .actual_access:  read_only
        .address_space:  global
        .offset:         64
        .size:           8
        .value_kind:     global_buffer
      - .actual_access:  read_only
        .address_space:  global
        .offset:         72
        .size:           8
        .value_kind:     global_buffer
      - .address_space:  global
        .offset:         80
        .size:           8
        .value_kind:     global_buffer
    .group_segment_fixed_size: 0
    .kernarg_segment_align: 8
    .kernarg_segment_size: 88
    .language:       OpenCL C
    .language_version:
      - 2
      - 0
    .max_flat_workgroup_size: 135
    .name:           fft_rtc_fwd_len1350_factors_5_10_3_3_3_wgs_135_tpt_135_halfLds_sp_ip_CI_unitstride_sbrr_C2R_dirReg
    .private_segment_fixed_size: 0
    .sgpr_count:     28
    .sgpr_spill_count: 0
    .symbol:         fft_rtc_fwd_len1350_factors_5_10_3_3_3_wgs_135_tpt_135_halfLds_sp_ip_CI_unitstride_sbrr_C2R_dirReg.kd
    .uniform_work_group_size: 1
    .uses_dynamic_stack: false
    .vgpr_count:     62
    .vgpr_spill_count: 0
    .wavefront_size: 64
amdhsa.target:   amdgcn-amd-amdhsa--gfx950
amdhsa.version:
  - 1
  - 2
...

	.end_amdgpu_metadata
